;; amdgpu-corpus repo=zjin-lcf/HeCBench kind=compiled arch=gfx1250 opt=O3
	.amdgcn_target "amdgcn-amd-amdhsa--gfx1250"
	.amdhsa_code_object_version 6
	.text
	.protected	_Z14CalculateRangePK10ProjectilePS_ ; -- Begin function _Z14CalculateRangePK10ProjectilePS_
	.globl	_Z14CalculateRangePK10ProjectilePS_
	.p2align	8
	.type	_Z14CalculateRangePK10ProjectilePS_,@function
_Z14CalculateRangePK10ProjectilePS_:    ; @_Z14CalculateRangePK10ProjectilePS_
; %bb.0:
	s_load_b32 s2, s[0:1], 0x1c
	s_bfe_u32 s3, ttmp6, 0x4000c
	s_and_b32 s4, ttmp6, 15
	s_add_co_i32 s3, s3, 1
	s_getreg_b32 s5, hwreg(HW_REG_IB_STS2, 6, 4)
	s_mul_i32 s3, ttmp9, s3
	s_delay_alu instid0(SALU_CYCLE_1) | instskip(SKIP_4) | instid1(SALU_CYCLE_1)
	s_add_co_i32 s4, s4, s3
	s_wait_kmcnt 0x0
	s_and_b32 s2, s2, 0xffff
	s_cmp_eq_u32 s5, 0
	s_cselect_b32 s3, ttmp9, s4
	v_mad_u32 v2, s3, s2, v0
	s_mov_b32 s2, exec_lo
	s_delay_alu instid0(VALU_DEP_1)
	v_cmpx_gt_i32_e32 0x989680, v2
	s_cbranch_execz .LBB0_10
; %bb.1:
	s_load_b128 s[0:3], s[0:1], 0x0
	s_wait_kmcnt 0x0
	v_mad_nc_i64_i32 v[0:1], v2, 20, s[0:1]
	global_load_b64 v[0:1], v[0:1], off
	s_wait_loadcnt 0x0
	v_mul_f32_e32 v3, 0x40490e56, v0
	s_delay_alu instid0(VALU_DEP_1) | instskip(NEXT) | instid1(VALU_DEP_1)
	v_div_scale_f32 v4, null, 0x43340000, 0x43340000, v3
	v_rcp_f32_e32 v5, v4
	v_nop
	s_delay_alu instid0(TRANS32_DEP_1) | instskip(NEXT) | instid1(VALU_DEP_1)
	v_fma_f32 v6, -v4, v5, 1.0
	v_fmac_f32_e32 v5, v6, v5
	v_div_scale_f32 v6, vcc_lo, v3, 0x43340000, v3
	s_delay_alu instid0(VALU_DEP_1) | instskip(NEXT) | instid1(VALU_DEP_1)
	v_mul_f32_e32 v7, v6, v5
	v_fma_f32 v8, -v4, v7, v6
	s_delay_alu instid0(VALU_DEP_1) | instskip(NEXT) | instid1(VALU_DEP_1)
	v_fmac_f32_e32 v7, v8, v5
	v_fma_f32 v4, -v4, v7, v6
	s_delay_alu instid0(VALU_DEP_1) | instskip(NEXT) | instid1(VALU_DEP_1)
	v_div_fmas_f32 v4, v4, v5, v7
                                        ; implicit-def: $vgpr7
                                        ; implicit-def: $vgpr5
	v_div_fixup_f32 v3, v4, 0x43340000, v3
	s_delay_alu instid0(VALU_DEP_1) | instskip(SKIP_1) | instid1(VALU_DEP_2)
	v_and_b32_e32 v4, 0x7fffffff, v3
	v_cmp_ngt_f32_e64 s4, 0x48000000, |v3|
	v_lshrrev_b32_e32 v6, 23, v4
	s_and_saveexec_b32 s0, s4
	s_delay_alu instid0(SALU_CYCLE_1)
	s_xor_b32 s5, exec_lo, s0
	s_cbranch_execz .LBB0_3
; %bb.2:
	s_mov_b32 s0, 0x7fffff
	v_mov_b32_e32 v9, 0
	v_and_or_b32 v8, v4, s0, 0x800000
	s_mov_b64 s[0:1], 0xfe5163ab
	v_add_nc_u32_e32 v5, 0xffffff88, v6
	s_delay_alu instid0(VALU_DEP_2) | instskip(NEXT) | instid1(VALU_DEP_2)
	v_mul_u64_e32 v[10:11], s[0:1], v[8:9]
	v_cmp_lt_u32_e32 vcc_lo, 63, v5
	v_cndmask_b32_e64 v7, 0, 0xffffffc0, vcc_lo
	s_delay_alu instid0(VALU_DEP_3) | instskip(SKIP_2) | instid1(VALU_DEP_3)
	v_dual_mov_b32 v12, v11 :: v_dual_mov_b32 v13, v9
	v_dual_mov_b32 v15, v9 :: v_dual_mov_b32 v17, v9
	;; [unrolled: 1-line block ×3, first 2 shown]
	v_mad_nc_u64_u32 v[12:13], 0x3c439041, v8, v[12:13]
	v_dual_add_nc_u32 v5, v7, v5 :: v_dual_mov_b32 v23, v9
	s_delay_alu instid0(VALU_DEP_1) | instskip(NEXT) | instid1(VALU_DEP_3)
	v_cmp_lt_u32_e64 s0, 31, v5
	v_mov_b32_e32 v14, v13
	s_delay_alu instid0(VALU_DEP_2) | instskip(NEXT) | instid1(VALU_DEP_2)
	v_cndmask_b32_e64 v7, 0, 0xffffffe0, s0
	v_mad_nc_u64_u32 v[14:15], 0xdb629599, v8, v[14:15]
	s_delay_alu instid0(VALU_DEP_2) | instskip(NEXT) | instid1(VALU_DEP_1)
	v_add_nc_u32_e32 v5, v7, v5
	v_cmp_lt_u32_e64 s1, 31, v5
	s_delay_alu instid0(VALU_DEP_3) | instskip(NEXT) | instid1(VALU_DEP_2)
	v_mov_b32_e32 v16, v15
	v_cndmask_b32_e64 v7, 0, 0xffffffe0, s1
	v_cndmask_b32_e32 v10, v14, v10, vcc_lo
	s_delay_alu instid0(VALU_DEP_3) | instskip(NEXT) | instid1(VALU_DEP_1)
	v_mad_nc_u64_u32 v[16:17], 0xf534ddc0, v8, v[16:17]
	v_dual_add_nc_u32 v5, v7, v5 :: v_dual_cndmask_b32 v7, v16, v12, vcc_lo
	s_delay_alu instid0(VALU_DEP_2) | instskip(NEXT) | instid1(VALU_DEP_1)
	v_mov_b32_e32 v18, v17
	v_mad_nc_u64_u32 v[18:19], 0xfc2757d1, v8, v[18:19]
	s_delay_alu instid0(VALU_DEP_1) | instskip(NEXT) | instid1(VALU_DEP_1)
	v_dual_mov_b32 v20, v19 :: v_dual_cndmask_b32 v13, v18, v14
	v_mad_nc_u64_u32 v[20:21], 0x4e441529, v8, v[20:21]
	s_delay_alu instid0(VALU_DEP_1) | instskip(NEXT) | instid1(VALU_DEP_1)
	v_dual_mov_b32 v22, v21 :: v_dual_cndmask_b32 v11, v20, v16
	v_mad_nc_u64_u32 v[8:9], 0xa2f9836e, v8, v[22:23]
	s_delay_alu instid0(VALU_DEP_1) | instskip(SKIP_1) | instid1(VALU_DEP_2)
	v_dual_cndmask_b32 v8, v8, v18 :: v_dual_cndmask_b32 v9, v9, v20
	v_cmp_eq_u32_e32 vcc_lo, 0, v5
	v_dual_cndmask_b32 v12, v8, v11, s0 :: v_dual_cndmask_b32 v8, v9, v8, s0
	v_dual_cndmask_b32 v9, v11, v13, s0 :: v_dual_cndmask_b32 v13, v13, v7, s0
	s_delay_alu instid0(VALU_DEP_2) | instskip(NEXT) | instid1(VALU_DEP_2)
	v_dual_sub_nc_u32 v11, 32, v5 :: v_dual_cndmask_b32 v8, v8, v12, s1
	v_cndmask_b32_e64 v12, v12, v9, s1
	s_delay_alu instid0(VALU_DEP_1) | instskip(NEXT) | instid1(VALU_DEP_1)
	v_alignbit_b32 v15, v8, v12, v11
	v_dual_cndmask_b32 v9, v9, v13, s1 :: v_dual_cndmask_b32 v5, v15, v8, vcc_lo
	s_delay_alu instid0(VALU_DEP_1) | instskip(SKIP_1) | instid1(VALU_DEP_3)
	v_alignbit_b32 v14, v12, v9, v11
	v_cndmask_b32_e64 v7, v7, v10, s0
	v_bfe_u32 v10, v5, 29, 1
	s_delay_alu instid0(VALU_DEP_2) | instskip(NEXT) | instid1(VALU_DEP_2)
	v_dual_cndmask_b32 v8, v14, v12, vcc_lo :: v_dual_cndmask_b32 v7, v13, v7, s1
	v_sub_nc_u32_e32 v13, 0, v10
	s_delay_alu instid0(VALU_DEP_2) | instskip(NEXT) | instid1(VALU_DEP_3)
	v_alignbit_b32 v12, v5, v8, 30
	v_alignbit_b32 v11, v9, v7, v11
	s_delay_alu instid0(VALU_DEP_2) | instskip(NEXT) | instid1(VALU_DEP_2)
	v_xor_b32_e32 v12, v12, v13
	v_cndmask_b32_e32 v9, v11, v9, vcc_lo
	s_delay_alu instid0(VALU_DEP_2) | instskip(NEXT) | instid1(VALU_DEP_2)
	v_clz_i32_u32_e32 v11, v12
	v_alignbit_b32 v8, v8, v9, 30
	v_alignbit_b32 v7, v9, v7, 30
	s_delay_alu instid0(VALU_DEP_3) | instskip(NEXT) | instid1(VALU_DEP_3)
	v_min_u32_e32 v11, 32, v11
	v_xor_b32_e32 v8, v8, v13
	s_delay_alu instid0(VALU_DEP_2) | instskip(SKIP_1) | instid1(VALU_DEP_2)
	v_dual_sub_nc_u32 v9, 31, v11 :: v_dual_bitop2_b32 v7, v7, v13 bitop3:0x14
	v_lshlrev_b32_e32 v14, 23, v11
	v_alignbit_b32 v12, v12, v8, v9
	v_lshrrev_b32_e32 v13, 29, v5
	s_delay_alu instid0(VALU_DEP_4) | instskip(NEXT) | instid1(VALU_DEP_1)
	v_alignbit_b32 v7, v8, v7, v9
	v_alignbit_b32 v9, v12, v7, 9
	s_delay_alu instid0(VALU_DEP_3) | instskip(NEXT) | instid1(VALU_DEP_2)
	v_dual_lshrrev_b32 v12, 9, v12 :: v_dual_lshlrev_b32 v8, 31, v13
	v_clz_i32_u32_e32 v15, v9
	s_delay_alu instid0(VALU_DEP_2) | instskip(SKIP_1) | instid1(VALU_DEP_2)
	v_or_b32_e32 v13, 0.5, v8
	v_or_b32_e32 v8, 0x33000000, v8
	v_sub_nc_u32_e32 v13, v13, v14
	s_delay_alu instid0(VALU_DEP_4) | instskip(NEXT) | instid1(VALU_DEP_1)
	v_min_u32_e32 v14, 32, v15
	v_add_lshl_u32 v11, v14, v11, 23
	s_delay_alu instid0(VALU_DEP_1) | instskip(NEXT) | instid1(VALU_DEP_4)
	v_sub_nc_u32_e32 v8, v8, v11
	v_or_b32_e32 v12, v12, v13
	v_not_b32_e32 v13, v14
	s_delay_alu instid0(VALU_DEP_1) | instskip(NEXT) | instid1(VALU_DEP_1)
	v_alignbit_b32 v7, v9, v7, v13
	v_lshrrev_b32_e32 v7, 9, v7
	s_delay_alu instid0(VALU_DEP_4) | instskip(NEXT) | instid1(VALU_DEP_2)
	v_mul_f32_e32 v15, 0x3fc90fda, v12
	v_or_b32_e32 v7, v8, v7
	s_delay_alu instid0(VALU_DEP_2) | instskip(NEXT) | instid1(VALU_DEP_1)
	v_fma_f32 v9, 0x3fc90fda, v12, -v15
	v_fmamk_f32 v9, v12, 0x33a22168, v9
	s_delay_alu instid0(VALU_DEP_1) | instskip(SKIP_1) | instid1(VALU_DEP_1)
	v_fmac_f32_e32 v9, 0x3fc90fda, v7
	v_lshrrev_b32_e32 v7, 30, v5
	v_dual_add_f32 v5, v15, v9 :: v_dual_add_nc_u32 v7, v10, v7
	s_or_saveexec_b32 s0, s5
	v_mul_f32_e64 v10, 0x3f22f983, |v3|
	s_xor_b32 exec_lo, exec_lo, s0
	s_branch .LBB0_4
.LBB0_3:
	s_or_saveexec_b32 s0, s5
	v_mul_f32_e64 v10, 0x3f22f983, |v3|
	s_xor_b32 exec_lo, exec_lo, s0
.LBB0_4:
	s_delay_alu instid0(VALU_DEP_1) | instskip(NEXT) | instid1(VALU_DEP_1)
	v_rndne_f32_e32 v7, v10
	v_fma_f32 v5, 0xbfc90fda, v7, |v3|
	s_delay_alu instid0(VALU_DEP_1) | instskip(NEXT) | instid1(VALU_DEP_1)
	v_fmamk_f32 v5, v7, 0xb3a22168, v5
	v_fmamk_f32 v5, v7, 0xa7c234c4, v5
	v_cvt_i32_f32_e32 v7, v7
; %bb.5:
	s_or_b32 exec_lo, exec_lo, s0
                                        ; implicit-def: $vgpr9
                                        ; implicit-def: $vgpr8
	s_and_saveexec_b32 s0, s4
	s_delay_alu instid0(SALU_CYCLE_1)
	s_xor_b32 s4, exec_lo, s0
	s_cbranch_execz .LBB0_7
; %bb.6:
	s_mov_b32 s0, 0x7fffff
	v_mov_b32_e32 v9, 0
	v_and_or_b32 v8, v4, s0, 0x800000
	s_mov_b64 s[0:1], 0xfe5163ab
	s_delay_alu instid0(VALU_DEP_1) | instid1(SALU_CYCLE_1)
	v_mul_u64_e32 v[10:11], s[0:1], v[8:9]
	s_delay_alu instid0(VALU_DEP_1) | instskip(SKIP_2) | instid1(VALU_DEP_3)
	v_dual_mov_b32 v12, v11 :: v_dual_mov_b32 v13, v9
	v_dual_mov_b32 v15, v9 :: v_dual_mov_b32 v17, v9
	;; [unrolled: 1-line block ×3, first 2 shown]
	v_mad_nc_u64_u32 v[12:13], 0x3c439041, v8, v[12:13]
	s_delay_alu instid0(VALU_DEP_1) | instskip(NEXT) | instid1(VALU_DEP_1)
	v_dual_mov_b32 v23, v9 :: v_dual_mov_b32 v14, v13
	v_mad_nc_u64_u32 v[14:15], 0xdb629599, v8, v[14:15]
	s_delay_alu instid0(VALU_DEP_1) | instskip(NEXT) | instid1(VALU_DEP_1)
	v_mov_b32_e32 v16, v15
	v_mad_nc_u64_u32 v[16:17], 0xf534ddc0, v8, v[16:17]
	s_delay_alu instid0(VALU_DEP_1) | instskip(NEXT) | instid1(VALU_DEP_1)
	v_mov_b32_e32 v18, v17
	;; [unrolled: 3-line block ×3, first 2 shown]
	v_mad_nc_u64_u32 v[20:21], 0x4e441529, v8, v[20:21]
	v_add_nc_u32_e32 v6, 0xffffff88, v6
	s_delay_alu instid0(VALU_DEP_1) | instskip(SKIP_1) | instid1(VALU_DEP_4)
	v_cmp_lt_u32_e32 vcc_lo, 63, v6
	v_cndmask_b32_e64 v11, 0, 0xffffffc0, vcc_lo
	v_dual_cndmask_b32 v13, v20, v16, vcc_lo :: v_dual_cndmask_b32 v15, v18, v14, vcc_lo
	s_delay_alu instid0(VALU_DEP_2) | instskip(NEXT) | instid1(VALU_DEP_1)
	v_dual_mov_b32 v22, v21 :: v_dual_add_nc_u32 v6, v11, v6
	v_mad_nc_u64_u32 v[8:9], 0xa2f9836e, v8, v[22:23]
	s_delay_alu instid0(VALU_DEP_2) | instskip(NEXT) | instid1(VALU_DEP_1)
	v_cmp_lt_u32_e64 s0, 31, v6
	v_cndmask_b32_e64 v11, 0, 0xffffffe0, s0
	s_delay_alu instid0(VALU_DEP_1) | instskip(NEXT) | instid1(VALU_DEP_1)
	v_dual_cndmask_b32 v9, v9, v20 :: v_dual_add_nc_u32 v6, v11, v6
	v_cmp_lt_u32_e64 s1, 31, v6
	s_delay_alu instid0(VALU_DEP_1) | instskip(NEXT) | instid1(VALU_DEP_1)
	v_cndmask_b32_e64 v11, 0, 0xffffffe0, s1
	v_dual_cndmask_b32 v11, v16, v12 :: v_dual_add_nc_u32 v6, v11, v6
	v_cndmask_b32_e32 v8, v8, v18, vcc_lo
	s_delay_alu instid0(VALU_DEP_1) | instskip(NEXT) | instid1(VALU_DEP_3)
	v_dual_cndmask_b32 v12, v8, v13, s0 :: v_dual_cndmask_b32 v8, v9, v8, s0
	v_dual_cndmask_b32 v9, v13, v15, s0 :: v_dual_sub_nc_u32 v13, 32, v6
	s_delay_alu instid0(VALU_DEP_2) | instskip(NEXT) | instid1(VALU_DEP_1)
	v_dual_cndmask_b32 v15, v15, v11, s0 :: v_dual_cndmask_b32 v8, v8, v12, s1
	v_dual_cndmask_b32 v12, v12, v9, s1 :: v_dual_cndmask_b32 v9, v9, v15, s1
	s_delay_alu instid0(VALU_DEP_1) | instskip(SKIP_2) | instid1(VALU_DEP_4)
	v_alignbit_b32 v16, v8, v12, v13
	v_cndmask_b32_e32 v10, v14, v10, vcc_lo
	v_cmp_eq_u32_e32 vcc_lo, 0, v6
	v_alignbit_b32 v14, v12, v9, v13
	s_delay_alu instid0(VALU_DEP_3) | instskip(NEXT) | instid1(VALU_DEP_2)
	v_dual_cndmask_b32 v6, v16, v8, vcc_lo :: v_dual_cndmask_b32 v8, v11, v10, s0
	v_cndmask_b32_e32 v10, v14, v12, vcc_lo
	s_delay_alu instid0(VALU_DEP_2) | instskip(NEXT) | instid1(VALU_DEP_3)
	v_bfe_u32 v11, v6, 29, 1
	v_cndmask_b32_e64 v8, v15, v8, s1
	s_delay_alu instid0(VALU_DEP_3) | instskip(NEXT) | instid1(VALU_DEP_3)
	v_alignbit_b32 v12, v6, v10, 30
	v_sub_nc_u32_e32 v14, 0, v11
	s_delay_alu instid0(VALU_DEP_3) | instskip(NEXT) | instid1(VALU_DEP_1)
	v_alignbit_b32 v13, v9, v8, v13
	v_dual_cndmask_b32 v9, v13, v9, vcc_lo :: v_dual_bitop2_b32 v12, v12, v14 bitop3:0x14
	s_delay_alu instid0(VALU_DEP_1) | instskip(NEXT) | instid1(VALU_DEP_2)
	v_clz_i32_u32_e32 v13, v12
	v_alignbit_b32 v10, v10, v9, 30
	v_alignbit_b32 v8, v9, v8, 30
	s_delay_alu instid0(VALU_DEP_3) | instskip(NEXT) | instid1(VALU_DEP_3)
	v_min_u32_e32 v13, 32, v13
	v_xor_b32_e32 v9, v10, v14
	s_delay_alu instid0(VALU_DEP_3) | instskip(SKIP_1) | instid1(VALU_DEP_4)
	v_xor_b32_e32 v8, v8, v14
	v_dual_lshrrev_b32 v14, 29, v6 :: v_dual_lshrrev_b32 v6, 30, v6
	v_dual_sub_nc_u32 v10, 31, v13 :: v_dual_lshlrev_b32 v15, 23, v13
	s_delay_alu instid0(VALU_DEP_1) | instskip(NEXT) | instid1(VALU_DEP_4)
	v_alignbit_b32 v12, v12, v9, v10
	v_alignbit_b32 v8, v9, v8, v10
	s_delay_alu instid0(VALU_DEP_4) | instskip(NEXT) | instid1(VALU_DEP_2)
	v_lshlrev_b32_e32 v9, 31, v14
	v_alignbit_b32 v10, v12, v8, 9
	s_delay_alu instid0(VALU_DEP_2) | instskip(SKIP_1) | instid1(VALU_DEP_3)
	v_dual_lshrrev_b32 v12, 9, v12 :: v_dual_bitop2_b32 v14, 0.5, v9 bitop3:0x54
	v_or_b32_e32 v9, 0x33000000, v9
	v_clz_i32_u32_e32 v16, v10
	s_delay_alu instid0(VALU_DEP_3) | instskip(NEXT) | instid1(VALU_DEP_2)
	v_sub_nc_u32_e32 v14, v14, v15
	v_min_u32_e32 v15, 32, v16
	s_delay_alu instid0(VALU_DEP_1) | instskip(NEXT) | instid1(VALU_DEP_1)
	v_add_lshl_u32 v13, v15, v13, 23
	v_dual_sub_nc_u32 v9, v9, v13 :: v_dual_bitop2_b32 v12, v12, v14 bitop3:0x54
	v_not_b32_e32 v14, v15
	s_delay_alu instid0(VALU_DEP_1) | instskip(NEXT) | instid1(VALU_DEP_1)
	v_alignbit_b32 v8, v10, v8, v14
	v_lshrrev_b32_e32 v8, 9, v8
	s_delay_alu instid0(VALU_DEP_4) | instskip(NEXT) | instid1(VALU_DEP_2)
	v_mul_f32_e32 v16, 0x3fc90fda, v12
	v_dual_add_nc_u32 v9, v11, v6 :: v_dual_bitop2_b32 v8, v9, v8 bitop3:0x54
	s_delay_alu instid0(VALU_DEP_2) | instskip(NEXT) | instid1(VALU_DEP_1)
	v_fma_f32 v10, 0x3fc90fda, v12, -v16
	v_fmamk_f32 v10, v12, 0x33a22168, v10
	s_delay_alu instid0(VALU_DEP_1) | instskip(NEXT) | instid1(VALU_DEP_1)
	v_fmac_f32_e32 v10, 0x3fc90fda, v8
	v_add_f32_e32 v8, v16, v10
                                        ; implicit-def: $vgpr10
	s_and_not1_saveexec_b32 s0, s4
	s_cbranch_execnz .LBB0_8
	s_branch .LBB0_9
.LBB0_7:
	s_and_not1_saveexec_b32 s0, s4
.LBB0_8:
	v_rndne_f32_e32 v6, v10
	s_delay_alu instid0(VALU_DEP_1) | instskip(SKIP_1) | instid1(VALU_DEP_2)
	v_fma_f32 v8, 0xbfc90fda, v6, |v3|
	v_cvt_i32_f32_e32 v9, v6
	v_fmamk_f32 v8, v6, 0xb3a22168, v8
	s_delay_alu instid0(VALU_DEP_1)
	v_fmamk_f32 v8, v6, 0xa7c234c4, v8
.LBB0_9:
	s_or_b32 exec_lo, exec_lo, s0
	v_dual_mul_f32 v6, v5, v5 :: v_dual_bitop2_b32 v12, 1, v7 bitop3:0x40
	s_mov_b32 s1, 0xb94c1982
	s_mov_b32 s4, 0x37d75334
	v_cmp_class_f32_e64 s0, v3, 0x1f8
	s_delay_alu instid0(VALU_DEP_2) | instskip(SKIP_3) | instid1(VALU_DEP_4)
	v_dual_fmaak_f32 v10, s1, v6, 0x3c0881c4 :: v_dual_lshlrev_b32 v7, 30, v7
	v_fmaak_f32 v11, s4, v6, 0xbab64f3b
	v_cmp_eq_u32_e32 vcc_lo, 0, v12
	v_xor_b32_e32 v4, v4, v3
	v_fmaak_f32 v10, v6, v10, 0xbe2aaa9d
	v_and_b32_e32 v7, 0x80000000, v7
	s_delay_alu instid0(VALU_DEP_2) | instskip(NEXT) | instid1(VALU_DEP_1)
	v_dual_fmaak_f32 v11, v6, v11, 0x3d2aabf7 :: v_dual_mul_f32 v10, v6, v10
	v_fmaak_f32 v11, v6, v11, 0xbf000004
	s_delay_alu instid0(VALU_DEP_2) | instskip(NEXT) | instid1(VALU_DEP_2)
	v_fmac_f32_e32 v5, v5, v10
	v_fma_f32 v6, v6, v11, 1.0
	s_delay_alu instid0(VALU_DEP_1) | instskip(NEXT) | instid1(VALU_DEP_1)
	v_dual_mul_f32 v11, v8, v8 :: v_dual_cndmask_b32 v5, v6, v5, vcc_lo
	v_fmaak_f32 v12, s4, v11, 0xbab64f3b
	s_delay_alu instid0(VALU_DEP_2) | instskip(SKIP_1) | instid1(VALU_DEP_2)
	v_xor3_b32 v4, v4, v7, v5
	v_add_f32_e32 v5, v1, v1
	v_cndmask_b32_e64 v4, 0x7fc00000, v4, s0
	s_delay_alu instid0(VALU_DEP_1) | instskip(NEXT) | instid1(VALU_DEP_1)
	v_mul_f32_e32 v3, v5, v4
	v_and_b32_e32 v5, 0x7fffffff, v3
	s_delay_alu instid0(VALU_DEP_1) | instskip(SKIP_1) | instid1(VALU_DEP_2)
	v_div_scale_f32 v6, null, 0x411cf5c3, 0x411cf5c3, v5
	v_div_scale_f32 v5, vcc_lo, v5, 0x411cf5c3, v5
	v_rcp_f32_e32 v7, v6
	v_nop
	s_delay_alu instid0(TRANS32_DEP_1) | instskip(NEXT) | instid1(VALU_DEP_1)
	v_fma_f32 v10, -v6, v7, 1.0
	v_fmac_f32_e32 v7, v10, v7
	v_fmaak_f32 v10, s1, v11, 0x3c0881c4
	v_dual_lshlrev_b32 v9, 30, v9 :: v_dual_bitop2_b32 v15, 1, v9 bitop3:0x40
	s_delay_alu instid0(VALU_DEP_2) | instskip(NEXT) | instid1(VALU_DEP_1)
	v_dual_mul_f32 v13, v5, v7 :: v_dual_fmaak_f32 v10, v11, v10, 0xbe2aaa9d
	v_dual_fma_f32 v14, -v6, v13, v5 :: v_dual_mul_f32 v10, v11, v10
	s_delay_alu instid0(VALU_DEP_1) | instskip(NEXT) | instid1(VALU_DEP_4)
	v_dual_fmac_f32 v13, v14, v7 :: v_dual_fmac_f32 v8, v8, v10
	v_cmp_eq_u32_e64 s1, 0, v15
	s_delay_alu instid0(VALU_DEP_2) | instskip(NEXT) | instid1(VALU_DEP_1)
	v_fma_f32 v5, -v6, v13, v5
	v_div_fmas_f32 v5, v5, v7, v13
	v_mul_f32_e32 v7, v1, v1
	s_delay_alu instid0(VALU_DEP_2) | instskip(SKIP_1) | instid1(VALU_DEP_2)
	v_div_fixup_f32 v3, v5, 0x411cf5c3, |v3|
	v_fmaak_f32 v12, v11, v12, 0x3d2aabf7
	v_dual_mul_f32 v5, v7, v4 :: v_dual_mul_f32 v7, v1, v3
	s_delay_alu instid0(VALU_DEP_2) | instskip(NEXT) | instid1(VALU_DEP_1)
	v_fmaak_f32 v12, v11, v12, 0xbf000004
	v_fma_f32 v10, v11, v12, 1.0
	s_delay_alu instid0(VALU_DEP_1) | instskip(NEXT) | instid1(VALU_DEP_4)
	v_cndmask_b32_e64 v6, -v8, v10, s1
	v_mul_f32_e32 v8, v4, v5
	v_mad_nc_i64_i32 v[4:5], v2, 20, s[2:3]
	s_delay_alu instid0(VALU_DEP_3) | instskip(NEXT) | instid1(VALU_DEP_1)
	v_bitop3_b32 v6, v9, v6, 0x80000000 bitop3:0x6c
	v_cndmask_b32_e64 v6, 0x7fc00000, v6, s0
	s_delay_alu instid0(VALU_DEP_1) | instskip(NEXT) | instid1(VALU_DEP_1)
	v_dual_mul_f32 v2, v7, v6 :: v_dual_mul_f32 v6, 0.5, v8
	v_and_b32_e32 v2, 0x7fffffff, v2
	s_delay_alu instid0(VALU_DEP_2)
	v_mul_f32_e32 v6, 0x411cf5c3, v6
	s_clause 0x1
	global_store_b128 v[4:5], v[0:3], off
	global_store_b32 v[4:5], v6, off offset:16
.LBB0_10:
	s_endpgm
	.section	.rodata,"a",@progbits
	.p2align	6, 0x0
	.amdhsa_kernel _Z14CalculateRangePK10ProjectilePS_
		.amdhsa_group_segment_fixed_size 0
		.amdhsa_private_segment_fixed_size 0
		.amdhsa_kernarg_size 272
		.amdhsa_user_sgpr_count 2
		.amdhsa_user_sgpr_dispatch_ptr 0
		.amdhsa_user_sgpr_queue_ptr 0
		.amdhsa_user_sgpr_kernarg_segment_ptr 1
		.amdhsa_user_sgpr_dispatch_id 0
		.amdhsa_user_sgpr_kernarg_preload_length 0
		.amdhsa_user_sgpr_kernarg_preload_offset 0
		.amdhsa_user_sgpr_private_segment_size 0
		.amdhsa_wavefront_size32 1
		.amdhsa_uses_dynamic_stack 0
		.amdhsa_enable_private_segment 0
		.amdhsa_system_sgpr_workgroup_id_x 1
		.amdhsa_system_sgpr_workgroup_id_y 0
		.amdhsa_system_sgpr_workgroup_id_z 0
		.amdhsa_system_sgpr_workgroup_info 0
		.amdhsa_system_vgpr_workitem_id 0
		.amdhsa_next_free_vgpr 24
		.amdhsa_next_free_sgpr 6
		.amdhsa_named_barrier_count 0
		.amdhsa_reserve_vcc 1
		.amdhsa_float_round_mode_32 0
		.amdhsa_float_round_mode_16_64 0
		.amdhsa_float_denorm_mode_32 3
		.amdhsa_float_denorm_mode_16_64 3
		.amdhsa_fp16_overflow 0
		.amdhsa_memory_ordered 1
		.amdhsa_forward_progress 1
		.amdhsa_inst_pref_size 19
		.amdhsa_round_robin_scheduling 0
		.amdhsa_exception_fp_ieee_invalid_op 0
		.amdhsa_exception_fp_denorm_src 0
		.amdhsa_exception_fp_ieee_div_zero 0
		.amdhsa_exception_fp_ieee_overflow 0
		.amdhsa_exception_fp_ieee_underflow 0
		.amdhsa_exception_fp_ieee_inexact 0
		.amdhsa_exception_int_div_zero 0
	.end_amdhsa_kernel
	.text
.Lfunc_end0:
	.size	_Z14CalculateRangePK10ProjectilePS_, .Lfunc_end0-_Z14CalculateRangePK10ProjectilePS_
                                        ; -- End function
	.set _Z14CalculateRangePK10ProjectilePS_.num_vgpr, 24
	.set _Z14CalculateRangePK10ProjectilePS_.num_agpr, 0
	.set _Z14CalculateRangePK10ProjectilePS_.numbered_sgpr, 6
	.set _Z14CalculateRangePK10ProjectilePS_.num_named_barrier, 0
	.set _Z14CalculateRangePK10ProjectilePS_.private_seg_size, 0
	.set _Z14CalculateRangePK10ProjectilePS_.uses_vcc, 1
	.set _Z14CalculateRangePK10ProjectilePS_.uses_flat_scratch, 0
	.set _Z14CalculateRangePK10ProjectilePS_.has_dyn_sized_stack, 0
	.set _Z14CalculateRangePK10ProjectilePS_.has_recursion, 0
	.set _Z14CalculateRangePK10ProjectilePS_.has_indirect_call, 0
	.section	.AMDGPU.csdata,"",@progbits
; Kernel info:
; codeLenInByte = 2416
; TotalNumSgprs: 8
; NumVgprs: 24
; ScratchSize: 0
; MemoryBound: 0
; FloatMode: 240
; IeeeMode: 1
; LDSByteSize: 0 bytes/workgroup (compile time only)
; SGPRBlocks: 0
; VGPRBlocks: 1
; NumSGPRsForWavesPerEU: 8
; NumVGPRsForWavesPerEU: 24
; NamedBarCnt: 0
; Occupancy: 16
; WaveLimiterHint : 0
; COMPUTE_PGM_RSRC2:SCRATCH_EN: 0
; COMPUTE_PGM_RSRC2:USER_SGPR: 2
; COMPUTE_PGM_RSRC2:TRAP_HANDLER: 0
; COMPUTE_PGM_RSRC2:TGID_X_EN: 1
; COMPUTE_PGM_RSRC2:TGID_Y_EN: 0
; COMPUTE_PGM_RSRC2:TGID_Z_EN: 0
; COMPUTE_PGM_RSRC2:TIDIG_COMP_CNT: 0
	.text
	.p2alignl 7, 3214868480
	.fill 96, 4, 3214868480
	.section	.AMDGPU.gpr_maximums,"",@progbits
	.set amdgpu.max_num_vgpr, 0
	.set amdgpu.max_num_agpr, 0
	.set amdgpu.max_num_sgpr, 0
	.text
	.type	__hip_cuid_2b5cdae53d282164,@object ; @__hip_cuid_2b5cdae53d282164
	.section	.bss,"aw",@nobits
	.globl	__hip_cuid_2b5cdae53d282164
__hip_cuid_2b5cdae53d282164:
	.byte	0                               ; 0x0
	.size	__hip_cuid_2b5cdae53d282164, 1

	.ident	"AMD clang version 22.0.0git (https://github.com/RadeonOpenCompute/llvm-project roc-7.2.4 26084 f58b06dce1f9c15707c5f808fd002e18c2accf7e)"
	.section	".note.GNU-stack","",@progbits
	.addrsig
	.addrsig_sym __hip_cuid_2b5cdae53d282164
	.amdgpu_metadata
---
amdhsa.kernels:
  - .args:
      - .address_space:  global
        .offset:         0
        .size:           8
        .value_kind:     global_buffer
      - .address_space:  global
        .offset:         8
        .size:           8
        .value_kind:     global_buffer
      - .offset:         16
        .size:           4
        .value_kind:     hidden_block_count_x
      - .offset:         20
        .size:           4
        .value_kind:     hidden_block_count_y
      - .offset:         24
        .size:           4
        .value_kind:     hidden_block_count_z
      - .offset:         28
        .size:           2
        .value_kind:     hidden_group_size_x
      - .offset:         30
        .size:           2
        .value_kind:     hidden_group_size_y
      - .offset:         32
        .size:           2
        .value_kind:     hidden_group_size_z
      - .offset:         34
        .size:           2
        .value_kind:     hidden_remainder_x
      - .offset:         36
        .size:           2
        .value_kind:     hidden_remainder_y
      - .offset:         38
        .size:           2
        .value_kind:     hidden_remainder_z
      - .offset:         56
        .size:           8
        .value_kind:     hidden_global_offset_x
      - .offset:         64
        .size:           8
        .value_kind:     hidden_global_offset_y
      - .offset:         72
        .size:           8
        .value_kind:     hidden_global_offset_z
      - .offset:         80
        .size:           2
        .value_kind:     hidden_grid_dims
    .group_segment_fixed_size: 0
    .kernarg_segment_align: 8
    .kernarg_segment_size: 272
    .language:       OpenCL C
    .language_version:
      - 2
      - 0
    .max_flat_workgroup_size: 1024
    .name:           _Z14CalculateRangePK10ProjectilePS_
    .private_segment_fixed_size: 0
    .sgpr_count:     8
    .sgpr_spill_count: 0
    .symbol:         _Z14CalculateRangePK10ProjectilePS_.kd
    .uniform_work_group_size: 1
    .uses_dynamic_stack: false
    .vgpr_count:     24
    .vgpr_spill_count: 0
    .wavefront_size: 32
amdhsa.target:   amdgcn-amd-amdhsa--gfx1250
amdhsa.version:
  - 1
  - 2
...

	.end_amdgpu_metadata
